;; amdgpu-corpus repo=ROCm/rocFFT kind=compiled arch=gfx1030 opt=O3
	.text
	.amdgcn_target "amdgcn-amd-amdhsa--gfx1030"
	.amdhsa_code_object_version 6
	.protected	fft_rtc_fwd_len3888_factors_16_3_3_3_3_3_wgs_324_tpt_324_halfLds_half_op_CI_CI_unitstride_sbrr_C2R_dirReg ; -- Begin function fft_rtc_fwd_len3888_factors_16_3_3_3_3_3_wgs_324_tpt_324_halfLds_half_op_CI_CI_unitstride_sbrr_C2R_dirReg
	.globl	fft_rtc_fwd_len3888_factors_16_3_3_3_3_3_wgs_324_tpt_324_halfLds_half_op_CI_CI_unitstride_sbrr_C2R_dirReg
	.p2align	8
	.type	fft_rtc_fwd_len3888_factors_16_3_3_3_3_3_wgs_324_tpt_324_halfLds_half_op_CI_CI_unitstride_sbrr_C2R_dirReg,@function
fft_rtc_fwd_len3888_factors_16_3_3_3_3_3_wgs_324_tpt_324_halfLds_half_op_CI_CI_unitstride_sbrr_C2R_dirReg: ; @fft_rtc_fwd_len3888_factors_16_3_3_3_3_3_wgs_324_tpt_324_halfLds_half_op_CI_CI_unitstride_sbrr_C2R_dirReg
; %bb.0:
	s_clause 0x2
	s_load_dwordx4 s[12:15], s[4:5], 0x0
	s_load_dwordx4 s[8:11], s[4:5], 0x58
	;; [unrolled: 1-line block ×3, first 2 shown]
	v_mul_u32_u24_e32 v1, 0x195, v0
	v_mov_b32_e32 v3, 0
	v_mov_b32_e32 v7, 0
	;; [unrolled: 1-line block ×3, first 2 shown]
	v_lshrrev_b32_e32 v1, 17, v1
	v_mov_b32_e32 v10, v3
	v_add_nc_u32_e32 v9, s6, v1
	s_waitcnt lgkmcnt(0)
	v_cmp_lt_u64_e64 s0, s[14:15], 2
	s_and_b32 vcc_lo, exec_lo, s0
	s_cbranch_vccnz .LBB0_8
; %bb.1:
	s_load_dwordx2 s[0:1], s[4:5], 0x10
	v_mov_b32_e32 v7, 0
	v_mov_b32_e32 v8, 0
	s_add_u32 s2, s18, 8
	s_addc_u32 s3, s19, 0
	v_mov_b32_e32 v1, v7
	s_add_u32 s6, s16, 8
	v_mov_b32_e32 v2, v8
	s_addc_u32 s7, s17, 0
	s_mov_b64 s[22:23], 1
	s_waitcnt lgkmcnt(0)
	s_add_u32 s20, s0, 8
	s_addc_u32 s21, s1, 0
.LBB0_2:                                ; =>This Inner Loop Header: Depth=1
	s_load_dwordx2 s[24:25], s[20:21], 0x0
                                        ; implicit-def: $vgpr5_vgpr6
	s_mov_b32 s0, exec_lo
	s_waitcnt lgkmcnt(0)
	v_or_b32_e32 v4, s25, v10
	v_cmpx_ne_u64_e32 0, v[3:4]
	s_xor_b32 s1, exec_lo, s0
	s_cbranch_execz .LBB0_4
; %bb.3:                                ;   in Loop: Header=BB0_2 Depth=1
	v_cvt_f32_u32_e32 v4, s24
	v_cvt_f32_u32_e32 v5, s25
	s_sub_u32 s0, 0, s24
	s_subb_u32 s26, 0, s25
	v_fmac_f32_e32 v4, 0x4f800000, v5
	v_rcp_f32_e32 v4, v4
	v_mul_f32_e32 v4, 0x5f7ffffc, v4
	v_mul_f32_e32 v5, 0x2f800000, v4
	v_trunc_f32_e32 v5, v5
	v_fmac_f32_e32 v4, 0xcf800000, v5
	v_cvt_u32_f32_e32 v5, v5
	v_cvt_u32_f32_e32 v4, v4
	v_mul_lo_u32 v6, s0, v5
	v_mul_hi_u32 v11, s0, v4
	v_mul_lo_u32 v12, s26, v4
	v_add_nc_u32_e32 v6, v11, v6
	v_mul_lo_u32 v11, s0, v4
	v_add_nc_u32_e32 v6, v6, v12
	v_mul_hi_u32 v12, v4, v11
	v_mul_lo_u32 v13, v4, v6
	v_mul_hi_u32 v14, v4, v6
	v_mul_hi_u32 v15, v5, v11
	v_mul_lo_u32 v11, v5, v11
	v_mul_hi_u32 v16, v5, v6
	v_mul_lo_u32 v6, v5, v6
	v_add_co_u32 v12, vcc_lo, v12, v13
	v_add_co_ci_u32_e32 v13, vcc_lo, 0, v14, vcc_lo
	v_add_co_u32 v11, vcc_lo, v12, v11
	v_add_co_ci_u32_e32 v11, vcc_lo, v13, v15, vcc_lo
	v_add_co_ci_u32_e32 v12, vcc_lo, 0, v16, vcc_lo
	v_add_co_u32 v6, vcc_lo, v11, v6
	v_add_co_ci_u32_e32 v11, vcc_lo, 0, v12, vcc_lo
	v_add_co_u32 v4, vcc_lo, v4, v6
	v_add_co_ci_u32_e32 v5, vcc_lo, v5, v11, vcc_lo
	v_mul_hi_u32 v6, s0, v4
	v_mul_lo_u32 v12, s26, v4
	v_mul_lo_u32 v11, s0, v5
	v_add_nc_u32_e32 v6, v6, v11
	v_mul_lo_u32 v11, s0, v4
	v_add_nc_u32_e32 v6, v6, v12
	v_mul_hi_u32 v12, v4, v11
	v_mul_lo_u32 v13, v4, v6
	v_mul_hi_u32 v14, v4, v6
	v_mul_hi_u32 v15, v5, v11
	v_mul_lo_u32 v11, v5, v11
	v_mul_hi_u32 v16, v5, v6
	v_mul_lo_u32 v6, v5, v6
	v_add_co_u32 v12, vcc_lo, v12, v13
	v_add_co_ci_u32_e32 v13, vcc_lo, 0, v14, vcc_lo
	v_add_co_u32 v11, vcc_lo, v12, v11
	v_add_co_ci_u32_e32 v11, vcc_lo, v13, v15, vcc_lo
	v_add_co_ci_u32_e32 v12, vcc_lo, 0, v16, vcc_lo
	v_add_co_u32 v6, vcc_lo, v11, v6
	v_add_co_ci_u32_e32 v11, vcc_lo, 0, v12, vcc_lo
	v_add_co_u32 v6, vcc_lo, v4, v6
	v_add_co_ci_u32_e32 v13, vcc_lo, v5, v11, vcc_lo
	v_mul_hi_u32 v15, v9, v6
	v_mad_u64_u32 v[11:12], null, v10, v6, 0
	v_mad_u64_u32 v[4:5], null, v9, v13, 0
	v_mad_u64_u32 v[13:14], null, v10, v13, 0
	v_add_co_u32 v4, vcc_lo, v15, v4
	v_add_co_ci_u32_e32 v5, vcc_lo, 0, v5, vcc_lo
	v_add_co_u32 v4, vcc_lo, v4, v11
	v_add_co_ci_u32_e32 v4, vcc_lo, v5, v12, vcc_lo
	v_add_co_ci_u32_e32 v5, vcc_lo, 0, v14, vcc_lo
	v_add_co_u32 v11, vcc_lo, v4, v13
	v_add_co_ci_u32_e32 v6, vcc_lo, 0, v5, vcc_lo
	v_mul_lo_u32 v12, s25, v11
	v_mad_u64_u32 v[4:5], null, s24, v11, 0
	v_mul_lo_u32 v13, s24, v6
	v_sub_co_u32 v4, vcc_lo, v9, v4
	v_add3_u32 v5, v5, v13, v12
	v_sub_nc_u32_e32 v12, v10, v5
	v_subrev_co_ci_u32_e64 v12, s0, s25, v12, vcc_lo
	v_add_co_u32 v13, s0, v11, 2
	v_add_co_ci_u32_e64 v14, s0, 0, v6, s0
	v_sub_co_u32 v15, s0, v4, s24
	v_sub_co_ci_u32_e32 v5, vcc_lo, v10, v5, vcc_lo
	v_subrev_co_ci_u32_e64 v12, s0, 0, v12, s0
	v_cmp_le_u32_e32 vcc_lo, s24, v15
	v_cmp_eq_u32_e64 s0, s25, v5
	v_cndmask_b32_e64 v15, 0, -1, vcc_lo
	v_cmp_le_u32_e32 vcc_lo, s25, v12
	v_cndmask_b32_e64 v16, 0, -1, vcc_lo
	v_cmp_le_u32_e32 vcc_lo, s24, v4
	;; [unrolled: 2-line block ×3, first 2 shown]
	v_cndmask_b32_e64 v17, 0, -1, vcc_lo
	v_cmp_eq_u32_e32 vcc_lo, s25, v12
	v_cndmask_b32_e64 v4, v17, v4, s0
	v_cndmask_b32_e32 v12, v16, v15, vcc_lo
	v_add_co_u32 v15, vcc_lo, v11, 1
	v_add_co_ci_u32_e32 v16, vcc_lo, 0, v6, vcc_lo
	v_cmp_ne_u32_e32 vcc_lo, 0, v12
	v_cndmask_b32_e32 v5, v16, v14, vcc_lo
	v_cndmask_b32_e32 v12, v15, v13, vcc_lo
	v_cmp_ne_u32_e32 vcc_lo, 0, v4
	v_cndmask_b32_e32 v6, v6, v5, vcc_lo
	v_cndmask_b32_e32 v5, v11, v12, vcc_lo
.LBB0_4:                                ;   in Loop: Header=BB0_2 Depth=1
	s_andn2_saveexec_b32 s0, s1
	s_cbranch_execz .LBB0_6
; %bb.5:                                ;   in Loop: Header=BB0_2 Depth=1
	v_cvt_f32_u32_e32 v4, s24
	s_sub_i32 s1, 0, s24
	v_rcp_iflag_f32_e32 v4, v4
	v_mul_f32_e32 v4, 0x4f7ffffe, v4
	v_cvt_u32_f32_e32 v4, v4
	v_mul_lo_u32 v5, s1, v4
	v_mul_hi_u32 v5, v4, v5
	v_add_nc_u32_e32 v4, v4, v5
	v_mul_hi_u32 v4, v9, v4
	v_mul_lo_u32 v5, v4, s24
	v_add_nc_u32_e32 v6, 1, v4
	v_sub_nc_u32_e32 v5, v9, v5
	v_subrev_nc_u32_e32 v11, s24, v5
	v_cmp_le_u32_e32 vcc_lo, s24, v5
	v_cndmask_b32_e32 v5, v5, v11, vcc_lo
	v_cndmask_b32_e32 v4, v4, v6, vcc_lo
	v_cmp_le_u32_e32 vcc_lo, s24, v5
	v_add_nc_u32_e32 v6, 1, v4
	v_cndmask_b32_e32 v5, v4, v6, vcc_lo
	v_mov_b32_e32 v6, v3
.LBB0_6:                                ;   in Loop: Header=BB0_2 Depth=1
	s_or_b32 exec_lo, exec_lo, s0
	v_mul_lo_u32 v4, v6, s24
	v_mul_lo_u32 v13, v5, s25
	s_load_dwordx2 s[0:1], s[6:7], 0x0
	v_mad_u64_u32 v[11:12], null, v5, s24, 0
	s_load_dwordx2 s[24:25], s[2:3], 0x0
	s_add_u32 s22, s22, 1
	s_addc_u32 s23, s23, 0
	s_add_u32 s2, s2, 8
	s_addc_u32 s3, s3, 0
	s_add_u32 s6, s6, 8
	v_add3_u32 v4, v12, v13, v4
	v_sub_co_u32 v9, vcc_lo, v9, v11
	s_addc_u32 s7, s7, 0
	s_add_u32 s20, s20, 8
	v_sub_co_ci_u32_e32 v4, vcc_lo, v10, v4, vcc_lo
	s_addc_u32 s21, s21, 0
	s_waitcnt lgkmcnt(0)
	v_mul_lo_u32 v10, s0, v4
	v_mul_lo_u32 v11, s1, v9
	v_mad_u64_u32 v[7:8], null, s0, v9, v[7:8]
	v_mul_lo_u32 v4, s24, v4
	v_mul_lo_u32 v12, s25, v9
	v_mad_u64_u32 v[1:2], null, s24, v9, v[1:2]
	v_cmp_ge_u64_e64 s0, s[22:23], s[14:15]
	v_add3_u32 v8, v11, v8, v10
	v_add3_u32 v2, v12, v2, v4
	s_and_b32 vcc_lo, exec_lo, s0
	s_cbranch_vccnz .LBB0_9
; %bb.7:                                ;   in Loop: Header=BB0_2 Depth=1
	v_mov_b32_e32 v10, v6
	v_mov_b32_e32 v9, v5
	s_branch .LBB0_2
.LBB0_8:
	v_mov_b32_e32 v1, v7
	v_mov_b32_e32 v5, v9
	;; [unrolled: 1-line block ×4, first 2 shown]
.LBB0_9:
	s_load_dwordx2 s[0:1], s[4:5], 0x28
	s_lshl_b64 s[4:5], s[14:15], 3
	v_mul_hi_u32_u24_e32 v4, 0xca4588, v0
	s_add_u32 s2, s18, s4
	s_addc_u32 s3, s19, s5
                                        ; implicit-def: $vgpr3
	s_waitcnt lgkmcnt(0)
	v_cmp_gt_u64_e32 vcc_lo, s[0:1], v[5:6]
	v_cmp_le_u64_e64 s0, s[0:1], v[5:6]
	s_and_saveexec_b32 s1, s0
	s_xor_b32 s0, exec_lo, s1
; %bb.10:
	v_mul_u32_u24_e32 v3, 0x144, v4
                                        ; implicit-def: $vgpr4
                                        ; implicit-def: $vgpr7_vgpr8
	v_sub_nc_u32_e32 v3, v0, v3
                                        ; implicit-def: $vgpr0
; %bb.11:
	s_or_saveexec_b32 s1, s0
	s_load_dwordx2 s[2:3], s[2:3], 0x0
	s_xor_b32 exec_lo, exec_lo, s1
	s_cbranch_execz .LBB0_15
; %bb.12:
	s_add_u32 s4, s16, s4
	s_addc_u32 s5, s17, s5
	v_lshlrev_b64 v[7:8], 2, v[7:8]
	s_load_dwordx2 s[4:5], s[4:5], 0x0
	s_waitcnt lgkmcnt(0)
	v_mul_lo_u32 v3, s5, v5
	v_mul_lo_u32 v11, s4, v6
	v_mad_u64_u32 v[9:10], null, s4, v5, 0
	s_mov_b32 s4, exec_lo
	v_add3_u32 v10, v10, v11, v3
	v_mul_u32_u24_e32 v3, 0x144, v4
	v_lshlrev_b64 v[9:10], 2, v[9:10]
	v_sub_nc_u32_e32 v3, v0, v3
	v_lshlrev_b32_e32 v21, 2, v3
	v_add_co_u32 v0, s0, s8, v9
	v_add_co_ci_u32_e64 v4, s0, s9, v10, s0
	v_add_co_u32 v0, s0, v0, v7
	v_add_co_ci_u32_e64 v4, s0, v4, v8, s0
	v_add_co_u32 v7, s0, v0, v21
	v_add_co_ci_u32_e64 v8, s0, 0, v4, s0
	v_add_co_u32 v9, s0, 0x800, v7
	v_add_co_ci_u32_e64 v10, s0, 0, v8, s0
	v_add_co_u32 v11, s0, 0x1000, v7
	v_add_co_ci_u32_e64 v12, s0, 0, v8, s0
	v_add_co_u32 v13, s0, 0x1800, v7
	v_add_co_ci_u32_e64 v14, s0, 0, v8, s0
	v_add_co_u32 v15, s0, 0x2000, v7
	v_add_co_ci_u32_e64 v16, s0, 0, v8, s0
	v_add_co_u32 v17, s0, 0x2800, v7
	v_add_co_ci_u32_e64 v18, s0, 0, v8, s0
	v_add_co_u32 v19, s0, 0x3000, v7
	v_add_co_ci_u32_e64 v20, s0, 0, v8, s0
	s_clause 0xb
	global_load_dword v22, v[7:8], off
	global_load_dword v7, v[7:8], off offset:1296
	global_load_dword v8, v[9:10], off offset:544
	;; [unrolled: 1-line block ×11, first 2 shown]
	v_add_nc_u32_e32 v18, 0, v21
	s_waitcnt vmcnt(11)
	ds_write_b32 v18, v22
	s_waitcnt vmcnt(10)
	ds_write_b32 v18, v7 offset:1296
	s_waitcnt vmcnt(9)
	ds_write_b32 v18, v8 offset:2592
	;; [unrolled: 2-line block ×11, first 2 shown]
	v_cmpx_eq_u32_e32 0x143, v3
	s_cbranch_execz .LBB0_14
; %bb.13:
	v_add_co_u32 v3, s0, 0x3800, v0
	v_add_co_ci_u32_e64 v4, s0, 0, v4, s0
	global_load_dword v0, v[3:4], off offset:1216
	v_mov_b32_e32 v4, 0
	v_mov_b32_e32 v3, 0x143
	s_waitcnt vmcnt(0)
	ds_write_b32 v4, v0 offset:15552
.LBB0_14:
	s_or_b32 exec_lo, exec_lo, s4
.LBB0_15:
	s_or_b32 exec_lo, exec_lo, s1
	v_lshlrev_b32_e32 v4, 2, v3
	s_waitcnt lgkmcnt(0)
	s_barrier
	buffer_gl0_inv
	s_add_u32 s1, s12, 0x3c80
	v_add_nc_u32_e32 v0, 0, v4
	v_sub_nc_u32_e32 v9, 0, v4
	s_addc_u32 s4, s13, 0
	s_mov_b32 s5, exec_lo
                                        ; implicit-def: $vgpr7_vgpr8
	ds_read_u16 v12, v0
	ds_read_u16 v13, v9 offset:15552
	s_waitcnt lgkmcnt(0)
	v_add_f16_e32 v11, v13, v12
	v_sub_f16_e32 v10, v12, v13
	v_cmpx_ne_u32_e32 0, v3
	s_xor_b32 s5, exec_lo, s5
	s_cbranch_execz .LBB0_17
; %bb.16:
	v_mov_b32_e32 v4, 0
	v_add_f16_e32 v11, v13, v12
	v_sub_f16_e32 v12, v12, v13
	v_lshlrev_b64 v[7:8], 2, v[3:4]
	v_add_co_u32 v7, s0, s1, v7
	v_add_co_ci_u32_e64 v8, s0, s4, v8, s0
	global_load_dword v7, v[7:8], off
	ds_read_u16 v8, v9 offset:15554
	ds_read_u16 v10, v0 offset:2
	s_waitcnt lgkmcnt(0)
	v_add_f16_e32 v13, v8, v10
	v_sub_f16_e32 v8, v10, v8
	s_waitcnt vmcnt(0)
	v_lshrrev_b32_e32 v14, 16, v7
	v_fma_f16 v15, -v12, v14, v11
	v_fma_f16 v16, v13, v14, -v8
	v_fma_f16 v10, v13, v14, v8
	v_fma_f16 v11, v12, v14, v11
	v_fmac_f16_e32 v15, v7, v13
	v_fmac_f16_e32 v16, v12, v7
	;; [unrolled: 1-line block ×3, first 2 shown]
	v_fma_f16 v11, -v7, v13, v11
	v_mov_b32_e32 v8, v4
	v_mov_b32_e32 v7, v3
	v_pack_b32_f16 v12, v15, v16
	ds_write_b32 v9, v12 offset:15552
.LBB0_17:
	s_andn2_saveexec_b32 s0, s5
	s_cbranch_execz .LBB0_19
; %bb.18:
	v_mov_b32_e32 v4, 0
	ds_read_b32 v7, v4 offset:7776
	s_waitcnt lgkmcnt(0)
	v_pk_mul_f16 v12, 0xc0004000, v7
	v_mov_b32_e32 v7, 0
	v_mov_b32_e32 v8, 0
	ds_write_b32 v4, v12 offset:7776
.LBB0_19:
	s_or_b32 exec_lo, exec_lo, s0
	v_lshlrev_b64 v[7:8], 2, v[7:8]
	v_add_nc_u32_e32 v23, 0x3500, v0
	v_add_co_u32 v7, s0, s1, v7
	v_add_co_ci_u32_e64 v8, s0, s4, v8, s0
	s_mov_b32 s1, exec_lo
	v_add_co_u32 v12, s0, 0x800, v7
	global_load_dword v4, v[7:8], off offset:1296
	v_add_co_ci_u32_e64 v13, s0, 0, v8, s0
	s_clause 0x1
	global_load_dword v14, v[12:13], off offset:544
	global_load_dword v15, v[12:13], off offset:1840
	v_add_co_u32 v12, s0, 0x1000, v7
	v_add_co_ci_u32_e64 v13, s0, 0, v8, s0
	v_add_co_u32 v7, s0, 0x1800, v7
	v_add_co_ci_u32_e64 v8, s0, 0, v8, s0
	s_clause 0x1
	global_load_dword v12, v[12:13], off offset:1088
	global_load_dword v7, v[7:8], off offset:336
	v_perm_b32 v8, v10, v11, 0x5040100
	ds_write_b32 v0, v8
	ds_read_b32 v8, v0 offset:1296
	ds_read_b32 v10, v9 offset:14256
	s_waitcnt lgkmcnt(0)
	v_add_f16_e32 v11, v8, v10
	v_add_f16_sdwa v13, v10, v8 dst_sel:DWORD dst_unused:UNUSED_PAD src0_sel:WORD_1 src1_sel:WORD_1
	v_sub_f16_e32 v16, v8, v10
	v_sub_f16_sdwa v8, v8, v10 dst_sel:DWORD dst_unused:UNUSED_PAD src0_sel:WORD_1 src1_sel:WORD_1
	s_waitcnt vmcnt(4)
	v_lshrrev_b32_e32 v17, 16, v4
	v_fma_f16 v10, v16, v17, v11
	v_fma_f16 v18, v13, v17, v8
	v_fma_f16 v11, -v16, v17, v11
	v_fma_f16 v8, v13, v17, -v8
	v_fma_f16 v10, -v4, v13, v10
	v_fmac_f16_e32 v18, v16, v4
	v_fmac_f16_e32 v11, v4, v13
	;; [unrolled: 1-line block ×3, first 2 shown]
	v_pack_b32_f16 v4, v10, v18
	s_waitcnt vmcnt(3)
	v_lshrrev_b32_e32 v10, 16, v14
	v_pack_b32_f16 v8, v11, v8
	v_add_nc_u32_e32 v18, 0x2d80, v0
	ds_write_b32 v0, v4 offset:1296
	ds_write_b32 v9, v8 offset:14256
	ds_read_b32 v4, v0 offset:2592
	ds_read_b32 v8, v9 offset:12960
	s_waitcnt lgkmcnt(0)
	v_add_f16_e32 v11, v4, v8
	v_add_f16_sdwa v13, v8, v4 dst_sel:DWORD dst_unused:UNUSED_PAD src0_sel:WORD_1 src1_sel:WORD_1
	v_sub_f16_e32 v16, v4, v8
	v_sub_f16_sdwa v4, v4, v8 dst_sel:DWORD dst_unused:UNUSED_PAD src0_sel:WORD_1 src1_sel:WORD_1
	v_fma_f16 v8, v16, v10, v11
	v_fma_f16 v17, v13, v10, v4
	v_fma_f16 v11, -v16, v10, v11
	v_fma_f16 v4, v13, v10, -v4
	s_waitcnt vmcnt(2)
	v_lshrrev_b32_e32 v10, 16, v15
	v_fma_f16 v8, -v14, v13, v8
	v_fmac_f16_e32 v17, v16, v14
	v_fmac_f16_e32 v11, v14, v13
	v_fmac_f16_e32 v4, v16, v14
	v_pack_b32_f16 v8, v8, v17
	v_add_nc_u32_e32 v17, 0x25e0, v0
	v_pack_b32_f16 v4, v11, v4
	ds_write_b32 v0, v8 offset:2592
	ds_write_b32 v9, v4 offset:12960
	ds_read_b32 v4, v0 offset:3888
	ds_read_b32 v8, v9 offset:11664
	s_waitcnt lgkmcnt(0)
	v_add_f16_e32 v11, v4, v8
	v_add_f16_sdwa v13, v8, v4 dst_sel:DWORD dst_unused:UNUSED_PAD src0_sel:WORD_1 src1_sel:WORD_1
	v_sub_f16_e32 v14, v4, v8
	v_sub_f16_sdwa v4, v4, v8 dst_sel:DWORD dst_unused:UNUSED_PAD src0_sel:WORD_1 src1_sel:WORD_1
	v_fma_f16 v8, v14, v10, v11
	v_fma_f16 v16, v13, v10, v4
	v_fma_f16 v11, -v14, v10, v11
	v_fma_f16 v4, v13, v10, -v4
	s_waitcnt vmcnt(1)
	v_lshrrev_b32_e32 v10, 16, v12
	v_fma_f16 v8, -v15, v13, v8
	v_fmac_f16_e32 v16, v14, v15
	v_fmac_f16_e32 v11, v15, v13
	v_fmac_f16_e32 v4, v14, v15
	v_pack_b32_f16 v8, v8, v16
	v_add_nc_u32_e32 v16, 0x1e40, v0
	v_pack_b32_f16 v4, v11, v4
	;; [unrolled: 22-line block ×3, first 2 shown]
	ds_write_b32 v0, v8 offset:5184
	ds_write_b32 v9, v4 offset:10368
	ds_read_b32 v4, v0 offset:6480
	ds_read_b32 v8, v9 offset:9072
	s_waitcnt lgkmcnt(0)
	v_add_f16_e32 v11, v4, v8
	v_add_f16_sdwa v12, v8, v4 dst_sel:DWORD dst_unused:UNUSED_PAD src0_sel:WORD_1 src1_sel:WORD_1
	v_sub_f16_e32 v13, v4, v8
	v_sub_f16_sdwa v4, v4, v8 dst_sel:DWORD dst_unused:UNUSED_PAD src0_sel:WORD_1 src1_sel:WORD_1
	v_fma_f16 v8, v13, v10, v11
	v_fma_f16 v14, v12, v10, v4
	v_fma_f16 v11, -v13, v10, v11
	v_fma_f16 v4, v12, v10, -v4
	v_add_nc_u32_e32 v10, 0x780, v0
	v_fma_f16 v8, -v7, v12, v8
	v_fmac_f16_e32 v14, v13, v7
	v_fmac_f16_e32 v11, v7, v12
	;; [unrolled: 1-line block ×3, first 2 shown]
	v_add_nc_u32_e32 v13, 0xf00, v0
	v_pack_b32_f16 v7, v8, v14
	v_pack_b32_f16 v4, v11, v4
	ds_write_b32 v0, v7 offset:6480
	ds_write_b32 v9, v4 offset:9072
	s_waitcnt lgkmcnt(0)
	s_barrier
	buffer_gl0_inv
	s_barrier
	buffer_gl0_inv
	ds_read2_b32 v[11:12], v0 offset1:243
	ds_read2_b32 v[7:8], v10 offset0:6 offset1:249
	ds_read2_b32 v[13:14], v13 offset0:12 offset1:255
	;; [unrolled: 1-line block ×7, first 2 shown]
	s_waitcnt lgkmcnt(0)
	s_barrier
	buffer_gl0_inv
	v_cmpx_gt_u32_e32 0xf3, v3
	s_cbranch_execz .LBB0_21
; %bb.20:
	v_pk_add_f16 v4, v11, v19 neg_lo:[0,1] neg_hi:[0,1]
	v_pk_add_f16 v19, v13, v21 neg_lo:[0,1] neg_hi:[0,1]
	;; [unrolled: 1-line block ×8, first 2 shown]
	v_sub_f16_sdwa v22, v4, v19 dst_sel:DWORD dst_unused:UNUSED_PAD src0_sel:DWORD src1_sel:WORD_1
	v_sub_f16_sdwa v23, v15, v17 dst_sel:DWORD dst_unused:UNUSED_PAD src0_sel:DWORD src1_sel:WORD_1
	v_lshrrev_b32_e32 v24, 16, v15
	v_sub_f16_sdwa v25, v20, v21 dst_sel:DWORD dst_unused:UNUSED_PAD src0_sel:DWORD src1_sel:WORD_1
	v_sub_f16_sdwa v26, v16, v18 dst_sel:DWORD dst_unused:UNUSED_PAD src0_sel:DWORD src1_sel:WORD_1
	v_lshrrev_b32_e32 v27, 16, v16
	v_lshrrev_b32_e32 v29, 16, v20
	v_fmamk_f16 v28, v23, 0x39a8, v22
	v_add_f16_e32 v30, v24, v17
	v_fmamk_f16 v31, v26, 0x39a8, v25
	v_add_f16_e32 v32, v27, v18
	v_add_f16_e32 v33, v29, v21
	v_lshrrev_b32_e32 v38, 16, v4
	v_fmac_f16_e32 v28, 0xb9a8, v30
	v_fma_f16 v41, v15, 2.0, -v23
	v_fmac_f16_e32 v31, 0xb9a8, v32
	v_fmamk_f16 v34, v32, 0x39a8, v33
	v_add_f16_e32 v40, v38, v19
	v_fma_f16 v35, v22, 2.0, -v28
	v_fma_f16 v22, v4, 2.0, -v22
	;; [unrolled: 1-line block ×3, first 2 shown]
	v_fmac_f16_e32 v34, 0x39a8, v26
	v_fma_f16 v24, v24, 2.0, -v30
	v_fma_f16 v25, v20, 2.0, -v25
	;; [unrolled: 1-line block ×7, first 2 shown]
	v_fmamk_f16 v33, v41, 0xb9a8, v22
	v_fmamk_f16 v38, v26, 0xb9a8, v25
	;; [unrolled: 1-line block ×5, first 2 shown]
	v_fmac_f16_e32 v33, 0xb9a8, v24
	v_fmac_f16_e32 v38, 0xb9a8, v27
	;; [unrolled: 1-line block ×4, first 2 shown]
	v_pk_fma_f16 v4, v11, 2.0, v4 op_sel_hi:[1,0,1] neg_lo:[0,0,1] neg_hi:[0,0,1]
	v_pk_fma_f16 v11, v13, 2.0, v19 op_sel_hi:[1,0,1] neg_lo:[0,0,1] neg_hi:[0,0,1]
	v_pk_fma_f16 v12, v12, 2.0, v20 op_sel_hi:[1,0,1] neg_lo:[0,0,1] neg_hi:[0,0,1]
	v_pk_fma_f16 v13, v14, 2.0, v21 op_sel_hi:[1,0,1] neg_lo:[0,0,1] neg_hi:[0,0,1]
	v_fmac_f16_e32 v30, 0x39a8, v23
	v_fma_f16 v22, v22, 2.0, -v33
	v_fma_f16 v25, v25, 2.0, -v38
	;; [unrolled: 1-line block ×3, first 2 shown]
	v_pk_fma_f16 v7, v7, 2.0, v15 op_sel_hi:[1,0,1] neg_lo:[0,0,1] neg_hi:[0,0,1]
	v_pk_fma_f16 v9, v9, 2.0, v17 op_sel_hi:[1,0,1] neg_lo:[0,0,1] neg_hi:[0,0,1]
	;; [unrolled: 1-line block ×4, first 2 shown]
	v_fma_f16 v14, v32, 2.0, -v43
	v_pk_add_f16 v11, v4, v11 neg_lo:[0,1] neg_hi:[0,1]
	v_pk_add_f16 v13, v12, v13 neg_lo:[0,1] neg_hi:[0,1]
	v_fmamk_f16 v37, v36, 0xb61f, v35
	v_fma_f16 v23, v40, 2.0, -v30
	v_pk_add_f16 v9, v7, v9 neg_lo:[0,1] neg_hi:[0,1]
	v_pk_add_f16 v10, v8, v10 neg_lo:[0,1] neg_hi:[0,1]
	v_fmamk_f16 v16, v25, 0xbb64, v22
	v_fmamk_f16 v17, v29, 0xbb64, v14
	v_lshrrev_b32_e32 v20, 16, v13
	v_lshrrev_b32_e32 v21, 16, v11
	v_fmamk_f16 v27, v38, 0x361f, v33
	v_fmac_f16_e32 v37, 0xbb64, v39
	v_fmamk_f16 v40, v42, 0x361f, v43
	v_fmamk_f16 v39, v39, 0xb61f, v23
	v_sub_f16_sdwa v18, v11, v9 dst_sel:DWORD dst_unused:UNUSED_PAD src0_sel:DWORD src1_sel:WORD_1
	v_sub_f16_sdwa v19, v13, v10 dst_sel:DWORD dst_unused:UNUSED_PAD src0_sel:DWORD src1_sel:WORD_1
	v_fmac_f16_e32 v16, 0xb61f, v29
	v_fmac_f16_e32 v17, 0x361f, v25
	v_add_f16_e32 v25, v20, v10
	v_add_f16_e32 v29, v21, v9
	v_fmamk_f16 v26, v34, 0x3b64, v30
	v_fmac_f16_e32 v27, 0xbb64, v42
	v_pk_fma_f16 v4, v4, 2.0, v11 op_sel_hi:[1,0,1] neg_lo:[0,0,1] neg_hi:[0,0,1]
	v_pk_fma_f16 v7, v7, 2.0, v9 op_sel_hi:[1,0,1] neg_lo:[0,0,1] neg_hi:[0,0,1]
	v_fmac_f16_e32 v40, 0x3b64, v38
	v_fmac_f16_e32 v39, 0x3b64, v36
	v_fma_f16 v36, v11, 2.0, -v18
	v_fma_f16 v38, v13, 2.0, -v19
	v_pk_fma_f16 v9, v12, 2.0, v13 op_sel_hi:[1,0,1] neg_lo:[0,0,1] neg_hi:[0,0,1]
	v_pk_fma_f16 v8, v8, 2.0, v10 op_sel_hi:[1,0,1] neg_lo:[0,0,1] neg_hi:[0,0,1]
	v_fma_f16 v10, v20, 2.0, -v25
	v_fma_f16 v11, v21, 2.0, -v29
	v_fmamk_f16 v24, v31, 0x3b64, v28
	v_fmac_f16_e32 v26, 0x361f, v31
	v_fma_f16 v31, v33, 2.0, -v27
	v_fmamk_f16 v33, v25, 0x39a8, v29
	v_pk_add_f16 v7, v4, v7 neg_lo:[0,1] neg_hi:[0,1]
	v_pk_add_f16 v8, v9, v8 neg_lo:[0,1] neg_hi:[0,1]
	v_fmamk_f16 v12, v38, 0xb9a8, v36
	v_fmamk_f16 v13, v10, 0xb9a8, v11
	v_fma_f16 v15, v23, 2.0, -v39
	v_fmamk_f16 v23, v19, 0x39a8, v18
	v_fmac_f16_e32 v33, 0x39a8, v19
	v_lshrrev_b32_e32 v19, 16, v7
	v_pk_fma_f16 v4, v4, 2.0, v7 op_sel_hi:[1,0,1] neg_lo:[0,0,1] neg_hi:[0,0,1]
	v_pk_fma_f16 v9, v9, 2.0, v8 op_sel_hi:[1,0,1] neg_lo:[0,0,1] neg_hi:[0,0,1]
	v_fmac_f16_e32 v12, 0xb9a8, v10
	v_fmac_f16_e32 v13, 0x39a8, v38
	v_sub_f16_sdwa v10, v7, v8 dst_sel:DWORD dst_unused:UNUSED_PAD src0_sel:DWORD src1_sel:WORD_1
	v_add_f16_e32 v8, v19, v8
	v_fmac_f16_e32 v24, 0xb61f, v34
	v_fma_f16 v22, v22, 2.0, -v16
	v_fma_f16 v14, v14, 2.0, -v17
	v_fmac_f16_e32 v23, 0xb9a8, v25
	v_pk_add_f16 v9, v4, v9 neg_lo:[0,1] neg_hi:[0,1]
	v_fma_f16 v20, v36, 2.0, -v12
	v_fma_f16 v11, v11, 2.0, -v13
	;; [unrolled: 1-line block ×8, first 2 shown]
	v_mad_u32_u24 v32, v3, 60, v0
	v_pk_fma_f16 v4, v4, 2.0, v9 op_sel_hi:[1,0,1] neg_lo:[0,0,1] neg_hi:[0,0,1]
	v_pack_b32_f16 v14, v22, v14
	v_pack_b32_f16 v11, v20, v11
	v_fma_f16 v18, v18, 2.0, -v23
	v_fma_f16 v20, v29, 2.0, -v33
	v_pack_b32_f16 v15, v35, v15
	v_pack_b32_f16 v7, v7, v19
	;; [unrolled: 1-line block ×3, first 2 shown]
	ds_write2_b32 v32, v4, v14 offset1:1
	ds_write2_b32 v32, v11, v15 offset0:2 offset1:3
	ds_write2_b32 v32, v7, v19 offset0:4 offset1:5
	v_pack_b32_f16 v4, v28, v30
	v_pack_b32_f16 v7, v18, v20
	;; [unrolled: 1-line block ×9, first 2 shown]
	ds_write2_b32 v32, v7, v4 offset0:6 offset1:7
	ds_write2_b32 v32, v9, v11 offset0:8 offset1:9
	;; [unrolled: 1-line block ×5, first 2 shown]
.LBB0_21:
	s_or_b32 exec_lo, exec_lo, s1
	v_add_nc_u32_e32 v10, 0x144, v3
	v_and_b32_e32 v18, 15, v3
	v_add_nc_u32_e32 v9, 0x288, v3
	s_waitcnt lgkmcnt(0)
	s_barrier
	v_and_b32_e32 v19, 15, v10
	v_lshlrev_b32_e32 v4, 3, v18
	buffer_gl0_inv
	v_and_b32_e32 v20, 15, v9
	v_lshrrev_b32_e32 v33, 4, v3
	v_lshlrev_b32_e32 v11, 3, v19
	global_load_dwordx2 v[7:8], v4, s[12:13]
	v_mov_b32_e32 v36, 0xaaab
	v_lshlrev_b32_e32 v14, 3, v20
	v_mul_u32_u24_e32 v33, 48, v33
	global_load_dwordx2 v[12:13], v11, s[12:13]
	v_add_nc_u32_e32 v4, 0x3cc, v3
	v_lshrrev_b32_e32 v37, 4, v10
	v_lshrrev_b32_e32 v38, 4, v9
	v_mul_u32_u24_sdwa v40, v3, v36 dst_sel:DWORD dst_unused:UNUSED_PAD src0_sel:WORD_0 src1_sel:DWORD
	v_mul_u32_u24_sdwa v41, v10, v36 dst_sel:DWORD dst_unused:UNUSED_PAD src0_sel:WORD_0 src1_sel:DWORD
	v_and_b32_e32 v21, 15, v4
	v_lshrrev_b32_e32 v39, 4, v4
	v_mul_u32_u24_sdwa v42, v9, v36 dst_sel:DWORD dst_unused:UNUSED_PAD src0_sel:WORD_0 src1_sel:DWORD
	v_or_b32_e32 v18, v33, v18
	v_mul_u32_u24_e32 v33, 48, v37
	v_lshlrev_b32_e32 v11, 3, v21
	v_mul_u32_u24_e32 v37, 48, v38
	v_mul_u32_u24_e32 v38, 48, v39
	s_clause 0x1
	global_load_dwordx2 v[14:15], v14, s[12:13]
	global_load_dwordx2 v[16:17], v11, s[12:13]
	ds_read_b32 v22, v0 offset:6480
	ds_read_b32 v23, v0
	ds_read_b32 v24, v0 offset:1296
	ds_read_b32 v25, v0 offset:2592
	ds_read_u16 v26, v0 offset:7778
	ds_read_b32 v27, v0 offset:7776
	ds_read_b32 v28, v0 offset:5184
	;; [unrolled: 1-line block ×8, first 2 shown]
	v_lshrrev_b32_e32 v39, 21, v40
	v_lshrrev_b32_e32 v40, 21, v41
	;; [unrolled: 1-line block ×3, first 2 shown]
	v_mul_u32_u24_sdwa v36, v4, v36 dst_sel:DWORD dst_unused:UNUSED_PAD src0_sel:WORD_0 src1_sel:DWORD
	v_lshl_add_u32 v18, v18, 2, 0
	v_or_b32_e32 v19, v33, v19
	v_or_b32_e32 v20, v37, v20
	v_mul_lo_u16 v33, v39, 48
	s_waitcnt lgkmcnt(12)
	v_lshrrev_b32_e32 v51, 16, v22
	s_waitcnt lgkmcnt(11)
	v_lshrrev_b32_e32 v42, 16, v23
	;; [unrolled: 2-line block ×4, first 2 shown]
	v_or_b32_e32 v21, v38, v21
	v_lshrrev_b32_e32 v36, 21, v36
	s_waitcnt lgkmcnt(6)
	v_lshrrev_b32_e32 v49, 16, v28
	s_waitcnt lgkmcnt(5)
	;; [unrolled: 2-line block ×6, first 2 shown]
	v_lshrrev_b32_e32 v47, 16, v35
	v_lshrrev_b32_e32 v48, 16, v32
	s_waitcnt vmcnt(0)
	s_barrier
	buffer_gl0_inv
	v_mul_lo_u16 v37, v40, 48
	v_lshl_add_u32 v19, v19, 2, 0
	v_lshl_add_u32 v20, v20, 2, 0
	v_mov_b32_e32 v11, 3
	v_sub_nc_u16 v33, v3, v33
	v_lshl_add_u32 v21, v21, 2, 0
	v_mul_lo_u16 v38, v41, 48
	v_sub_nc_u16 v37, v10, v37
	v_cmp_gt_u32_e64 s0, 0x6c, v3
	v_lshlrev_b32_sdwa v53, v11, v33 dst_sel:DWORD dst_unused:UNUSED_PAD src0_sel:DWORD src1_sel:WORD_0
	v_sub_nc_u16 v38, v9, v38
	v_lshlrev_b32_sdwa v58, v11, v37 dst_sel:DWORD dst_unused:UNUSED_PAD src0_sel:DWORD src1_sel:WORD_0
	v_mul_f16_sdwa v54, v7, v49 dst_sel:DWORD dst_unused:UNUSED_PAD src0_sel:WORD_1 src1_sel:DWORD
	v_mul_f16_sdwa v55, v7, v28 dst_sel:DWORD dst_unused:UNUSED_PAD src0_sel:WORD_1 src1_sel:DWORD
	;; [unrolled: 1-line block ×4, first 2 shown]
	v_fma_f16 v28, v7, v28, -v54
	v_fmac_f16_e32 v55, v7, v49
	v_fma_f16 v7, v8, v34, -v56
	v_fmac_f16_e32 v57, v8, v50
	v_mul_f16_sdwa v8, v12, v51 dst_sel:DWORD dst_unused:UNUSED_PAD src0_sel:WORD_1 src1_sel:DWORD
	v_mul_f16_sdwa v34, v12, v22 dst_sel:DWORD dst_unused:UNUSED_PAD src0_sel:WORD_1 src1_sel:DWORD
	v_mul_f16_sdwa v49, v13, v52 dst_sel:DWORD dst_unused:UNUSED_PAD src0_sel:WORD_1 src1_sel:DWORD
	v_mul_f16_sdwa v50, v13, v30 dst_sel:DWORD dst_unused:UNUSED_PAD src0_sel:WORD_1 src1_sel:DWORD
	v_fma_f16 v8, v12, v22, -v8
	v_fmac_f16_e32 v34, v12, v51
	v_fma_f16 v30, v13, v30, -v49
	v_fmac_f16_e32 v50, v13, v52
	v_mul_f16_sdwa v54, v26, v14 dst_sel:DWORD dst_unused:UNUSED_PAD src0_sel:DWORD src1_sel:WORD_1
	v_mul_f16_sdwa v56, v14, v27 dst_sel:DWORD dst_unused:UNUSED_PAD src0_sel:WORD_1 src1_sel:DWORD
	v_mul_f16_sdwa v59, v45, v15 dst_sel:DWORD dst_unused:UNUSED_PAD src0_sel:DWORD src1_sel:WORD_1
	v_mul_f16_sdwa v60, v31, v15 dst_sel:DWORD dst_unused:UNUSED_PAD src0_sel:DWORD src1_sel:WORD_1
	;; [unrolled: 1-line block ×6, first 2 shown]
	v_fma_f16 v13, v14, v27, -v54
	v_fmac_f16_e32 v56, v26, v14
	v_fma_f16 v14, v31, v15, -v59
	v_fmac_f16_e32 v60, v45, v15
	;; [unrolled: 2-line block ×4, first 2 shown]
	v_add_f16_e32 v17, v23, v28
	v_add_f16_e32 v22, v28, v7
	;; [unrolled: 1-line block ×4, first 2 shown]
	v_sub_f16_e32 v26, v55, v57
	v_sub_f16_e32 v28, v28, v7
	v_add_f16_e32 v7, v17, v7
	v_fmac_f16_e32 v23, -0.5, v22
	v_add_f16_e32 v17, v27, v57
	v_fmac_f16_e32 v42, -0.5, v31
	v_add_f16_e32 v27, v8, v30
	v_sub_f16_e32 v31, v34, v50
	v_add_f16_e32 v32, v43, v34
	v_add_f16_e32 v34, v34, v50
	v_sub_f16_e32 v47, v56, v60
	v_add_f16_e32 v48, v44, v56
	v_add_f16_e32 v49, v56, v60
	;; [unrolled: 1-line block ×6, first 2 shown]
	v_sub_f16_e32 v8, v8, v30
	v_add_f16_e32 v51, v29, v15
	v_add_f16_e32 v55, v46, v62
	v_sub_f16_e32 v15, v15, v16
	v_fmamk_f16 v57, v26, 0x3aee, v23
	v_fmac_f16_e32 v23, 0xbaee, v26
	v_fmamk_f16 v26, v28, 0xbaee, v42
	v_fmac_f16_e32 v24, -0.5, v27
	v_fmac_f16_e32 v43, -0.5, v34
	;; [unrolled: 1-line block ×3, first 2 shown]
	v_fmac_f16_e32 v42, 0x3aee, v28
	v_add_f16_e32 v35, v25, v13
	v_sub_f16_e32 v13, v13, v14
	v_fmac_f16_e32 v25, -0.5, v45
	v_fmac_f16_e32 v44, -0.5, v49
	v_sub_f16_e32 v54, v62, v12
	v_fmac_f16_e32 v29, -0.5, v52
	v_add_f16_e32 v22, v22, v30
	v_add_f16_e32 v27, v32, v50
	v_pack_b32_f16 v7, v7, v17
	v_fmamk_f16 v17, v31, 0x3aee, v24
	v_fmamk_f16 v30, v8, 0xbaee, v43
	;; [unrolled: 1-line block ×3, first 2 shown]
	v_fmac_f16_e32 v46, 0x3aee, v15
	v_pack_b32_f16 v15, v57, v26
	v_fmac_f16_e32 v24, 0xbaee, v31
	v_fmac_f16_e32 v43, 0x3aee, v8
	v_pack_b32_f16 v23, v23, v42
	v_add_f16_e32 v14, v35, v14
	v_add_f16_e32 v28, v48, v60
	v_fmamk_f16 v8, v47, 0x3aee, v25
	v_fmamk_f16 v31, v13, 0xbaee, v44
	v_add_f16_e32 v16, v51, v16
	v_add_f16_e32 v12, v55, v12
	v_fmac_f16_e32 v25, 0xbaee, v47
	v_fmac_f16_e32 v44, 0x3aee, v13
	v_fmamk_f16 v13, v54, 0x3aee, v29
	v_fmac_f16_e32 v29, 0xbaee, v54
	v_pack_b32_f16 v22, v22, v27
	ds_write2_b32 v18, v7, v15 offset1:16
	ds_write_b32 v18, v23 offset:128
	v_pack_b32_f16 v7, v17, v30
	v_pack_b32_f16 v15, v24, v43
	;; [unrolled: 1-line block ×8, first 2 shown]
	ds_write2_b32 v19, v22, v7 offset1:16
	ds_write_b32 v19, v15 offset:128
	ds_write2_b32 v20, v14, v8 offset1:16
	ds_write_b32 v20, v16 offset:128
	;; [unrolled: 2-line block ×3, first 2 shown]
	v_mul_lo_u16 v12, v36, 48
	s_waitcnt lgkmcnt(0)
	s_barrier
	buffer_gl0_inv
	s_clause 0x1
	global_load_dwordx2 v[7:8], v53, s[12:13] offset:128
	global_load_dwordx2 v[13:14], v58, s[12:13] offset:128
	v_sub_nc_u16 v19, v4, v12
	v_lshlrev_b32_sdwa v15, v11, v38 dst_sel:DWORD dst_unused:UNUSED_PAD src0_sel:DWORD src1_sel:WORD_0
	v_mul_u32_u24_e32 v27, 0x240, v41
	v_mul_u32_u24_e32 v28, 0x240, v36
	v_lshlrev_b32_sdwa v12, v11, v19 dst_sel:DWORD dst_unused:UNUSED_PAD src0_sel:DWORD src1_sel:WORD_0
	s_clause 0x1
	global_load_dwordx2 v[15:16], v15, s[12:13] offset:128
	global_load_dwordx2 v[17:18], v12, s[12:13] offset:128
	v_mov_b32_e32 v12, 0xe38f
	v_mul_u32_u24_sdwa v20, v3, v12 dst_sel:DWORD dst_unused:UNUSED_PAD src0_sel:WORD_0 src1_sel:DWORD
	v_mul_u32_u24_sdwa v22, v9, v12 dst_sel:DWORD dst_unused:UNUSED_PAD src0_sel:WORD_0 src1_sel:DWORD
	;; [unrolled: 1-line block ×4, first 2 shown]
	v_mov_b32_e32 v12, 2
	v_lshrrev_b32_e32 v24, 23, v20
	v_lshrrev_b32_e32 v26, 23, v22
	;; [unrolled: 1-line block ×3, first 2 shown]
	v_mul_u32_u24_e32 v20, 0x240, v39
	v_mul_u32_u24_e32 v21, 0x240, v40
	v_mul_lo_u16 v22, 0x90, v24
	v_lshlrev_b32_sdwa v38, v12, v38 dst_sel:DWORD dst_unused:UNUSED_PAD src0_sel:DWORD src1_sel:WORD_0
	v_lshlrev_b32_sdwa v33, v12, v33 dst_sel:DWORD dst_unused:UNUSED_PAD src0_sel:DWORD src1_sel:WORD_0
	;; [unrolled: 1-line block ×4, first 2 shown]
	v_sub_nc_u16 v31, v3, v22
	ds_read_b32 v22, v0
	ds_read_b32 v32, v0 offset:1296
	ds_read_b32 v34, v0 offset:2592
	;; [unrolled: 1-line block ×11, first 2 shown]
	v_add3_u32 v27, 0, v27, v38
	v_add3_u32 v20, 0, v20, v33
	;; [unrolled: 1-line block ×4, first 2 shown]
	v_lshrrev_b32_e32 v23, 23, v23
	v_mul_lo_u16 v29, 0x90, v25
	v_mul_lo_u16 v30, 0x90, v26
	v_lshlrev_b32_sdwa v46, v11, v31 dst_sel:DWORD dst_unused:UNUSED_PAD src0_sel:DWORD src1_sel:WORD_0
	s_waitcnt lgkmcnt(11)
	v_lshrrev_b32_e32 v28, 16, v22
	s_waitcnt lgkmcnt(10)
	v_lshrrev_b32_e32 v33, 16, v32
	;; [unrolled: 2-line block ×12, first 2 shown]
	v_sub_nc_u16 v29, v10, v29
	s_waitcnt vmcnt(0)
	s_barrier
	buffer_gl0_inv
	v_lshlrev_b32_sdwa v31, v12, v31 dst_sel:DWORD dst_unused:UNUSED_PAD src0_sel:DWORD src1_sel:WORD_0
	v_lshlrev_b32_sdwa v47, v11, v29 dst_sel:DWORD dst_unused:UNUSED_PAD src0_sel:DWORD src1_sel:WORD_0
	v_mul_u32_u24_e32 v26, 0x6c0, v26
	v_mul_u32_u24_e32 v25, 0x6c0, v25
	v_lshlrev_b32_sdwa v29, v12, v29 dst_sel:DWORD dst_unused:UNUSED_PAD src0_sel:DWORD src1_sel:WORD_0
	v_add3_u32 v25, 0, v25, v29
	v_mul_f16_sdwa v56, v7, v51 dst_sel:DWORD dst_unused:UNUSED_PAD src0_sel:WORD_1 src1_sel:DWORD
	v_mul_f16_sdwa v57, v7, v43 dst_sel:DWORD dst_unused:UNUSED_PAD src0_sel:WORD_1 src1_sel:DWORD
	;; [unrolled: 1-line block ×7, first 2 shown]
	v_fma_f16 v43, v7, v43, -v56
	v_mul_f16_sdwa v56, v14, v36 dst_sel:DWORD dst_unused:UNUSED_PAD src0_sel:WORD_1 src1_sel:DWORD
	v_fmac_f16_e32 v57, v7, v51
	v_mul_f16_sdwa v7, v15, v55 dst_sel:DWORD dst_unused:UNUSED_PAD src0_sel:WORD_1 src1_sel:DWORD
	v_fma_f16 v35, v8, v35, -v58
	v_mul_f16_sdwa v51, v15, v41 dst_sel:DWORD dst_unused:UNUSED_PAD src0_sel:WORD_1 src1_sel:DWORD
	v_fmac_f16_e32 v59, v8, v52
	v_mul_f16_sdwa v8, v38, v16 dst_sel:DWORD dst_unused:UNUSED_PAD src0_sel:DWORD src1_sel:WORD_1
	v_mul_f16_sdwa v52, v39, v16 dst_sel:DWORD dst_unused:UNUSED_PAD src0_sel:DWORD src1_sel:WORD_1
	;; [unrolled: 1-line block ×3, first 2 shown]
	v_fma_f16 v40, v13, v40, -v60
	v_mul_f16_sdwa v60, v42, v17 dst_sel:DWORD dst_unused:UNUSED_PAD src0_sel:DWORD src1_sel:WORD_1
	v_fmac_f16_e32 v61, v13, v53
	v_mul_f16_sdwa v13, v50, v18 dst_sel:DWORD dst_unused:UNUSED_PAD src0_sel:DWORD src1_sel:WORD_1
	v_mul_f16_sdwa v53, v45, v18 dst_sel:DWORD dst_unused:UNUSED_PAD src0_sel:DWORD src1_sel:WORD_1
	v_fma_f16 v36, v14, v36, -v62
	v_fmac_f16_e32 v56, v14, v54
	v_fma_f16 v7, v15, v41, -v7
	v_fmac_f16_e32 v51, v15, v55
	v_fma_f16 v8, v39, v16, -v8
	v_fmac_f16_e32 v52, v38, v16
	v_fma_f16 v14, v42, v17, -v58
	v_fmac_f16_e32 v60, v49, v17
	v_fma_f16 v13, v45, v18, -v13
	v_fmac_f16_e32 v53, v50, v18
	v_add_f16_e32 v15, v22, v43
	v_add_f16_e32 v16, v43, v35
	;; [unrolled: 1-line block ×5, first 2 shown]
	v_sub_f16_e32 v17, v57, v59
	v_add_f16_e32 v18, v28, v57
	v_sub_f16_e32 v39, v43, v35
	v_sub_f16_e32 v43, v61, v56
	v_add_f16_e32 v45, v33, v61
	v_add_f16_e32 v54, v7, v8
	v_sub_f16_e32 v55, v51, v52
	v_add_f16_e32 v57, v37, v51
	v_add_f16_e32 v51, v51, v52
	;; [unrolled: 1-line block ×3, first 2 shown]
	v_sub_f16_e32 v62, v60, v53
	v_add_f16_e32 v15, v15, v35
	v_add_f16_e32 v35, v48, v60
	;; [unrolled: 1-line block ×4, first 2 shown]
	v_fmac_f16_e32 v22, -0.5, v16
	v_fmac_f16_e32 v28, -0.5, v38
	v_sub_f16_e32 v40, v40, v36
	v_fmac_f16_e32 v32, -0.5, v42
	v_fmac_f16_e32 v33, -0.5, v49
	v_add_f16_e32 v50, v34, v7
	v_sub_f16_e32 v7, v7, v8
	v_add_f16_e32 v58, v44, v14
	v_sub_f16_e32 v14, v14, v13
	v_fmac_f16_e32 v34, -0.5, v54
	v_fmac_f16_e32 v37, -0.5, v51
	;; [unrolled: 1-line block ×4, first 2 shown]
	v_add_f16_e32 v16, v18, v59
	v_add_f16_e32 v18, v41, v36
	v_fmamk_f16 v41, v17, 0x3aee, v22
	v_fmac_f16_e32 v22, 0xbaee, v17
	v_fmamk_f16 v17, v39, 0xbaee, v28
	v_fmac_f16_e32 v28, 0x3aee, v39
	v_add_f16_e32 v36, v45, v56
	v_fmamk_f16 v39, v43, 0x3aee, v32
	v_fmamk_f16 v42, v40, 0xbaee, v33
	v_fmac_f16_e32 v32, 0xbaee, v43
	v_fmac_f16_e32 v33, 0x3aee, v40
	v_add_f16_e32 v8, v50, v8
	v_add_f16_e32 v38, v57, v52
	v_fmamk_f16 v40, v55, 0x3aee, v34
	v_fmamk_f16 v43, v7, 0xbaee, v37
	v_fmac_f16_e32 v37, 0x3aee, v7
	v_fmamk_f16 v7, v62, 0x3aee, v44
	v_fmamk_f16 v45, v14, 0xbaee, v48
	v_add_f16_e32 v13, v58, v13
	v_add_f16_e32 v35, v35, v53
	v_fmac_f16_e32 v34, 0xbaee, v55
	v_fmac_f16_e32 v44, 0xbaee, v62
	;; [unrolled: 1-line block ×3, first 2 shown]
	v_pack_b32_f16 v14, v15, v16
	v_pack_b32_f16 v16, v41, v17
	;; [unrolled: 1-line block ×12, first 2 shown]
	ds_write2_b32 v20, v14, v16 offset1:48
	ds_write_b32 v20, v17 offset:384
	ds_write2_b32 v21, v15, v18 offset1:48
	ds_write_b32 v21, v22 offset:384
	;; [unrolled: 2-line block ×4, first 2 shown]
	v_mul_lo_u16 v7, 0x90, v23
	v_sub_nc_u16 v27, v9, v30
	s_waitcnt lgkmcnt(0)
	s_barrier
	buffer_gl0_inv
	s_clause 0x1
	global_load_dwordx2 v[13:14], v46, s[12:13] offset:512
	global_load_dwordx2 v[15:16], v47, s[12:13] offset:512
	v_sub_nc_u16 v28, v4, v7
	v_lshlrev_b32_sdwa v8, v11, v27 dst_sel:DWORD dst_unused:UNUSED_PAD src0_sel:DWORD src1_sel:WORD_0
	v_add_nc_u32_e32 v21, 0xffffff94, v3
	v_mov_b32_e32 v30, 0x12f7
	v_lshrrev_b16 v33, 4, v9
	v_lshlrev_b32_sdwa v7, v11, v28 dst_sel:DWORD dst_unused:UNUSED_PAD src0_sel:DWORD src1_sel:WORD_0
	global_load_dwordx2 v[17:18], v8, s[12:13] offset:512
	v_lshrrev_b16 v34, 4, v4
	v_cndmask_b32_e64 v32, v21, v10, s0
	v_mul_u32_u24_sdwa v33, v33, v30 dst_sel:DWORD dst_unused:UNUSED_PAD src0_sel:WORD_0 src1_sel:DWORD
	global_load_dwordx2 v[19:20], v7, s[12:13] offset:512
	ds_read_b32 v36, v0
	ds_read_b32 v37, v0 offset:1296
	ds_read_b32 v38, v0 offset:2592
	;; [unrolled: 1-line block ×11, first 2 shown]
	v_lshlrev_b32_e32 v7, 1, v3
	v_mov_b32_e32 v8, 0
	v_mul_u32_u24_sdwa v30, v34, v30 dst_sel:DWORD dst_unused:UNUSED_PAD src0_sel:WORD_0 src1_sel:DWORD
	v_lshrrev_b32_e32 v33, 17, v33
	v_mul_u32_u24_e32 v34, 0x6c0, v24
	v_mul_u32_u24_e32 v35, 0x6c0, v23
	v_lshlrev_b64 v[21:22], 2, v[7:8]
	v_lshlrev_b32_e32 v7, 1, v32
	v_lshrrev_b32_e32 v30, 17, v30
	v_lshlrev_b32_sdwa v27, v12, v27 dst_sel:DWORD dst_unused:UNUSED_PAD src0_sel:DWORD src1_sel:WORD_0
	v_lshlrev_b32_sdwa v28, v12, v28 dst_sel:DWORD dst_unused:UNUSED_PAD src0_sel:DWORD src1_sel:WORD_0
	s_waitcnt lgkmcnt(8)
	v_lshrrev_b32_e32 v52, 16, v39
	v_lshlrev_b64 v[23:24], 2, v[7:8]
	v_mul_lo_u16 v7, 0x1b0, v33
	v_mul_lo_u16 v30, 0x1b0, v30
	s_waitcnt lgkmcnt(5)
	v_lshrrev_b32_e32 v53, 16, v42
	v_lshrrev_b32_e32 v54, 16, v40
	s_waitcnt lgkmcnt(2)
	v_lshrrev_b32_e32 v51, 16, v45
	v_sub_nc_u16 v48, v9, v7
	v_sub_nc_u16 v7, v4, v30
	v_add3_u32 v30, 0, v34, v31
	v_lshrrev_b32_e32 v34, 16, v41
	v_lshrrev_b32_e32 v55, 16, v43
	;; [unrolled: 1-line block ×3, first 2 shown]
	s_waitcnt lgkmcnt(0)
	v_lshrrev_b32_e32 v50, 16, v47
	v_add3_u32 v26, 0, v26, v27
	v_add3_u32 v27, 0, v35, v28
	v_lshrrev_b32_e32 v28, 16, v36
	v_lshrrev_b32_e32 v31, 16, v38
	;; [unrolled: 1-line block ×4, first 2 shown]
	v_add_co_u32 v21, s0, s12, v21
	v_add_co_ci_u32_e64 v22, s0, s13, v22, s0
	v_add_co_u32 v23, s0, s12, v23
	s_waitcnt vmcnt(0)
	s_barrier
	buffer_gl0_inv
	v_add_co_ci_u32_e64 v24, s0, s13, v24, s0
	v_cmp_lt_u32_e64 s0, 0x6b, v3
	v_mul_f16_sdwa v56, v13, v51 dst_sel:DWORD dst_unused:UNUSED_PAD src0_sel:WORD_1 src1_sel:DWORD
	v_mul_f16_sdwa v57, v13, v45 dst_sel:DWORD dst_unused:UNUSED_PAD src0_sel:WORD_1 src1_sel:DWORD
	;; [unrolled: 1-line block ×6, first 2 shown]
	v_fma_f16 v45, v13, v45, -v56
	v_mul_f16_sdwa v56, v16, v54 dst_sel:DWORD dst_unused:UNUSED_PAD src0_sel:WORD_1 src1_sel:DWORD
	v_fmac_f16_e32 v57, v13, v51
	v_mul_f16_sdwa v13, v16, v40 dst_sel:DWORD dst_unused:UNUSED_PAD src0_sel:WORD_1 src1_sel:DWORD
	v_fma_f16 v39, v14, v39, -v58
	v_mul_f16_sdwa v51, v17, v55 dst_sel:DWORD dst_unused:UNUSED_PAD src0_sel:WORD_1 src1_sel:DWORD
	v_fmac_f16_e32 v59, v14, v52
	v_mul_f16_sdwa v14, v17, v43 dst_sel:DWORD dst_unused:UNUSED_PAD src0_sel:WORD_1 src1_sel:DWORD
	v_mul_f16_sdwa v52, v34, v18 dst_sel:DWORD dst_unused:UNUSED_PAD src0_sel:DWORD src1_sel:WORD_1
	v_mul_f16_sdwa v58, v41, v18 dst_sel:DWORD dst_unused:UNUSED_PAD src0_sel:DWORD src1_sel:WORD_1
	v_fma_f16 v42, v15, v42, -v60
	v_mul_f16_sdwa v60, v49, v19 dst_sel:DWORD dst_unused:UNUSED_PAD src0_sel:DWORD src1_sel:WORD_1
	v_fmac_f16_e32 v61, v15, v53
	v_mul_f16_sdwa v15, v44, v19 dst_sel:DWORD dst_unused:UNUSED_PAD src0_sel:DWORD src1_sel:WORD_1
	v_fma_f16 v40, v16, v40, -v56
	v_mul_f16_sdwa v53, v50, v20 dst_sel:DWORD dst_unused:UNUSED_PAD src0_sel:DWORD src1_sel:WORD_1
	v_fmac_f16_e32 v13, v16, v54
	v_mul_f16_sdwa v16, v47, v20 dst_sel:DWORD dst_unused:UNUSED_PAD src0_sel:DWORD src1_sel:WORD_1
	v_fma_f16 v43, v17, v43, -v51
	v_fmac_f16_e32 v14, v17, v55
	v_fma_f16 v17, v41, v18, -v52
	v_fmac_f16_e32 v58, v34, v18
	;; [unrolled: 2-line block ×4, first 2 shown]
	v_add_f16_e32 v20, v36, v45
	v_add_f16_e32 v34, v45, v39
	v_add_f16_e32 v47, v57, v59
	v_add_f16_e32 v50, v42, v40
	v_add_f16_e32 v53, v61, v13
	v_sub_f16_e32 v41, v57, v59
	v_add_f16_e32 v44, v28, v57
	v_add_f16_e32 v55, v43, v17
	v_sub_f16_e32 v56, v14, v58
	v_add_f16_e32 v57, v31, v14
	v_add_f16_e32 v14, v14, v58
	v_sub_f16_e32 v45, v45, v39
	v_sub_f16_e32 v51, v61, v13
	v_add_f16_e32 v52, v29, v61
	v_add_f16_e32 v60, v46, v18
	;; [unrolled: 1-line block ×4, first 2 shown]
	v_sub_f16_e32 v39, v15, v16
	v_fmac_f16_e32 v36, -0.5, v34
	v_add_f16_e32 v34, v35, v15
	v_add_f16_e32 v15, v15, v16
	v_fmac_f16_e32 v28, -0.5, v47
	v_add_f16_e32 v49, v37, v42
	v_sub_f16_e32 v42, v42, v40
	v_fmac_f16_e32 v37, -0.5, v50
	v_fmac_f16_e32 v29, -0.5, v53
	v_add_f16_e32 v54, v38, v43
	v_sub_f16_e32 v43, v43, v17
	v_fmac_f16_e32 v38, -0.5, v55
	v_fmac_f16_e32 v31, -0.5, v14
	v_sub_f16_e32 v18, v18, v19
	v_add_f16_e32 v44, v44, v59
	v_add_f16_e32 v14, v60, v19
	v_fmac_f16_e32 v46, -0.5, v61
	v_fmac_f16_e32 v35, -0.5, v15
	v_fmamk_f16 v15, v41, 0x3aee, v36
	v_fmamk_f16 v19, v45, 0xbaee, v28
	v_add_f16_e32 v16, v34, v16
	v_fmac_f16_e32 v36, 0xbaee, v41
	v_fmac_f16_e32 v28, 0x3aee, v45
	v_add_f16_e32 v40, v49, v40
	v_add_f16_e32 v13, v52, v13
	v_fmamk_f16 v34, v51, 0x3aee, v37
	v_fmamk_f16 v41, v42, 0xbaee, v29
	v_fmac_f16_e32 v37, 0xbaee, v51
	v_fmac_f16_e32 v29, 0x3aee, v42
	v_add_f16_e32 v17, v54, v17
	v_add_f16_e32 v47, v57, v58
	v_fmamk_f16 v42, v56, 0x3aee, v38
	v_fmamk_f16 v45, v43, 0xbaee, v31
	v_fmac_f16_e32 v38, 0xbaee, v56
	v_fmac_f16_e32 v31, 0x3aee, v43
	v_fmamk_f16 v43, v39, 0x3aee, v46
	v_fmac_f16_e32 v46, 0xbaee, v39
	v_fmamk_f16 v39, v18, 0xbaee, v35
	v_fmac_f16_e32 v35, 0x3aee, v18
	v_pack_b32_f16 v18, v20, v44
	v_pack_b32_f16 v15, v15, v19
	;; [unrolled: 1-line block ×12, first 2 shown]
	ds_write2_b32 v30, v18, v15 offset1:144
	ds_write_b32 v30, v16 offset:1152
	ds_write2_b32 v25, v13, v19 offset1:144
	ds_write_b32 v25, v20 offset:1152
	;; [unrolled: 2-line block ×4, first 2 shown]
	v_and_b32_e32 v25, 0xffff, v7
	s_waitcnt lgkmcnt(0)
	s_barrier
	buffer_gl0_inv
	s_clause 0x1
	global_load_dwordx2 v[13:14], v[21:22], off offset:1664
	global_load_dwordx2 v[15:16], v[23:24], off offset:1664
	v_lshlrev_b32_sdwa v7, v11, v48 dst_sel:DWORD dst_unused:UNUSED_PAD src0_sel:DWORD src1_sel:WORD_0
	v_lshlrev_b32_e32 v11, 3, v25
	s_clause 0x1
	global_load_dwordx2 v[17:18], v7, s[12:13] offset:1664
	global_load_dwordx2 v[19:20], v11, s[12:13] offset:1664
	v_cndmask_b32_e64 v11, 0, 0x1440, s0
	v_lshlrev_b32_e32 v23, 2, v32
	v_lshlrev_b32_e32 v7, 1, v10
	v_add_co_u32 v21, s0, 0x1000, v21
	v_add_co_ci_u32_e64 v22, s0, 0, v22, s0
	v_add3_u32 v26, 0, v11, v23
	v_lshlrev_b64 v[10:11], 2, v[7:8]
	v_lshlrev_b32_e32 v7, 1, v9
	v_mul_u32_u24_e32 v27, 0x1440, v33
	v_lshlrev_b32_sdwa v29, v12, v48 dst_sel:DWORD dst_unused:UNUSED_PAD src0_sel:DWORD src1_sel:WORD_0
	v_lshl_add_u32 v25, v25, 2, 0
	v_lshlrev_b64 v[23:24], 2, v[7:8]
	v_lshlrev_b32_e32 v7, 1, v4
	v_add_co_u32 v4, s0, s12, v10
	v_add_co_ci_u32_e64 v28, s0, s13, v11, s0
	v_lshlrev_b64 v[9:10], 2, v[7:8]
	ds_read_b32 v7, v0
	ds_read_b32 v30, v0 offset:1296
	ds_read_b32 v31, v0 offset:2592
	ds_read_b32 v32, v0 offset:10368
	ds_read_b32 v33, v0 offset:11664
	ds_read_b32 v34, v0 offset:12960
	ds_read_b32 v35, v0 offset:6480
	ds_read_b32 v36, v0 offset:7776
	ds_read_b32 v37, v0 offset:9072
	ds_read_b32 v38, v0 offset:5184
	ds_read_b32 v39, v0 offset:3888
	v_add_co_u32 v11, s0, 0x1000, v4
	ds_read_b32 v4, v0 offset:14256
	v_add_co_ci_u32_e64 v12, s0, 0, v28, s0
	v_add3_u32 v27, 0, v27, v29
	v_add_co_u32 v23, s0, s12, v23
	v_add_co_ci_u32_e64 v24, s0, s13, v24, s0
	s_waitcnt lgkmcnt(11)
	v_lshrrev_b32_e32 v28, 16, v7
	s_waitcnt lgkmcnt(10)
	v_lshrrev_b32_e32 v29, 16, v30
	;; [unrolled: 2-line block ×10, first 2 shown]
	v_lshrrev_b32_e32 v40, 16, v31
	v_add_co_u32 v23, s0, 0x1000, v23
	s_waitcnt lgkmcnt(0)
	v_lshrrev_b32_e32 v44, 16, v4
	v_add_co_ci_u32_e64 v24, s0, 0, v24, s0
	s_waitcnt vmcnt(0)
	s_barrier
	buffer_gl0_inv
	v_mul_f16_sdwa v50, v13, v45 dst_sel:DWORD dst_unused:UNUSED_PAD src0_sel:WORD_1 src1_sel:DWORD
	v_mul_f16_sdwa v51, v13, v38 dst_sel:DWORD dst_unused:UNUSED_PAD src0_sel:WORD_1 src1_sel:DWORD
	;; [unrolled: 1-line block ×10, first 2 shown]
	v_mul_f16_sdwa v60, v41, v18 dst_sel:DWORD dst_unused:UNUSED_PAD src0_sel:DWORD src1_sel:WORD_1
	v_mul_f16_sdwa v61, v34, v18 dst_sel:DWORD dst_unused:UNUSED_PAD src0_sel:DWORD src1_sel:WORD_1
	v_fma_f16 v38, v13, v38, -v50
	v_mul_f16_sdwa v50, v43, v19 dst_sel:DWORD dst_unused:UNUSED_PAD src0_sel:DWORD src1_sel:WORD_1
	v_fmac_f16_e32 v51, v13, v45
	v_mul_f16_sdwa v13, v37, v19 dst_sel:DWORD dst_unused:UNUSED_PAD src0_sel:DWORD src1_sel:WORD_1
	v_fma_f16 v32, v14, v32, -v52
	v_mul_f16_sdwa v45, v44, v20 dst_sel:DWORD dst_unused:UNUSED_PAD src0_sel:DWORD src1_sel:WORD_1
	v_fmac_f16_e32 v53, v14, v46
	v_mul_f16_sdwa v14, v4, v20 dst_sel:DWORD dst_unused:UNUSED_PAD src0_sel:DWORD src1_sel:WORD_1
	v_fma_f16 v35, v15, v35, -v54
	v_fmac_f16_e32 v55, v15, v47
	v_fma_f16 v15, v16, v33, -v56
	v_fmac_f16_e32 v57, v16, v48
	;; [unrolled: 2-line block ×6, first 2 shown]
	v_add_f16_e32 v20, v38, v32
	v_add_f16_e32 v36, v51, v53
	;; [unrolled: 1-line block ×5, first 2 shown]
	v_sub_f16_e32 v33, v51, v53
	v_add_f16_e32 v34, v28, v51
	v_sub_f16_e32 v37, v38, v32
	v_sub_f16_e32 v43, v55, v57
	v_add_f16_e32 v44, v29, v55
	v_add_f16_e32 v47, v16, v17
	;; [unrolled: 1-line block ×4, first 2 shown]
	v_sub_f16_e32 v54, v13, v14
	v_add_f16_e32 v55, v42, v13
	v_add_f16_e32 v13, v13, v14
	v_fmac_f16_e32 v7, -0.5, v20
	v_fmac_f16_e32 v28, -0.5, v36
	v_add_f16_e32 v38, v30, v35
	v_sub_f16_e32 v35, v35, v15
	v_add_f16_e32 v51, v39, v18
	v_fmac_f16_e32 v30, -0.5, v41
	v_fmac_f16_e32 v29, -0.5, v45
	v_add_f16_e32 v46, v31, v16
	v_sub_f16_e32 v48, v59, v61
	v_add_f16_e32 v49, v40, v59
	v_sub_f16_e32 v16, v16, v17
	v_sub_f16_e32 v18, v18, v4
	v_add_f16_e32 v19, v19, v32
	v_add_f16_e32 v20, v34, v53
	v_fmac_f16_e32 v31, -0.5, v47
	v_fmac_f16_e32 v40, -0.5, v50
	;; [unrolled: 1-line block ×4, first 2 shown]
	v_fmamk_f16 v13, v33, 0x3aee, v7
	v_fmac_f16_e32 v7, 0xbaee, v33
	v_fmamk_f16 v33, v37, 0xbaee, v28
	v_fmac_f16_e32 v28, 0x3aee, v37
	v_add_f16_e32 v15, v38, v15
	v_add_f16_e32 v32, v44, v57
	;; [unrolled: 1-line block ×4, first 2 shown]
	v_fmamk_f16 v36, v43, 0x3aee, v30
	v_fmamk_f16 v37, v35, 0xbaee, v29
	v_fmac_f16_e32 v30, 0xbaee, v43
	v_fmac_f16_e32 v29, 0x3aee, v35
	v_add_f16_e32 v17, v46, v17
	v_add_f16_e32 v34, v49, v61
	v_fmamk_f16 v35, v48, 0x3aee, v31
	v_fmac_f16_e32 v31, 0xbaee, v48
	v_fmamk_f16 v38, v16, 0xbaee, v40
	v_fmac_f16_e32 v40, 0x3aee, v16
	;; [unrolled: 2-line block ×3, first 2 shown]
	v_fmamk_f16 v41, v18, 0xbaee, v42
	v_pack_b32_f16 v19, v19, v20
	v_fmac_f16_e32 v42, 0x3aee, v18
	v_pack_b32_f16 v13, v13, v33
	v_pack_b32_f16 v7, v7, v28
	;; [unrolled: 1-line block ×7, first 2 shown]
	ds_write_b32 v0, v19
	v_pack_b32_f16 v19, v35, v38
	v_pack_b32_f16 v20, v31, v40
	;; [unrolled: 1-line block ×4, first 2 shown]
	ds_write_b32 v0, v13 offset:1728
	ds_write_b32 v0, v7 offset:3456
	ds_write_b32 v26, v15
	ds_write_b32 v26, v14 offset:1728
	ds_write_b32 v26, v18 offset:3456
	ds_write_b32 v27, v17
	ds_write_b32 v27, v19 offset:1728
	ds_write_b32 v27, v20 offset:3456
	;; [unrolled: 1-line block ×5, first 2 shown]
	v_add_co_u32 v4, s0, s12, v9
	v_add_co_ci_u32_e64 v7, s0, s13, v10, s0
	s_waitcnt lgkmcnt(0)
	s_barrier
	buffer_gl0_inv
	s_clause 0x1
	global_load_dwordx2 v[13:14], v[21:22], off offset:1024
	global_load_dwordx2 v[9:10], v[11:12], off offset:1024
	v_add_co_u32 v11, s0, 0x1000, v4
	v_add_co_ci_u32_e64 v12, s0, 0, v7, s0
	s_clause 0x1
	global_load_dwordx2 v[15:16], v[23:24], off offset:1024
	global_load_dwordx2 v[11:12], v[11:12], off offset:1024
	ds_read_b32 v4, v0
	ds_read_b32 v7, v0 offset:1296
	ds_read_b32 v17, v0 offset:2592
	;; [unrolled: 1-line block ×11, first 2 shown]
	s_waitcnt vmcnt(0) lgkmcnt(0)
	s_barrier
	buffer_gl0_inv
	v_lshrrev_b32_e32 v27, 16, v4
	v_lshrrev_b32_e32 v28, 16, v7
	;; [unrolled: 1-line block ×12, first 2 shown]
	v_mul_f16_sdwa v39, v13, v34 dst_sel:DWORD dst_unused:UNUSED_PAD src0_sel:WORD_1 src1_sel:DWORD
	v_mul_f16_sdwa v40, v13, v24 dst_sel:DWORD dst_unused:UNUSED_PAD src0_sel:WORD_1 src1_sel:DWORD
	;; [unrolled: 1-line block ×10, first 2 shown]
	v_mul_f16_sdwa v49, v30, v16 dst_sel:DWORD dst_unused:UNUSED_PAD src0_sel:DWORD src1_sel:WORD_1
	v_mul_f16_sdwa v50, v18, v16 dst_sel:DWORD dst_unused:UNUSED_PAD src0_sel:DWORD src1_sel:WORD_1
	;; [unrolled: 1-line block ×6, first 2 shown]
	v_fma_f16 v24, v13, v24, -v39
	v_fmac_f16_e32 v40, v13, v34
	v_fma_f16 v13, v14, v25, -v41
	v_fmac_f16_e32 v42, v14, v35
	;; [unrolled: 2-line block ×8, first 2 shown]
	v_add_f16_e32 v12, v4, v24
	v_add_f16_e32 v18, v24, v13
	;; [unrolled: 1-line block ×4, first 2 shown]
	v_sub_f16_e32 v23, v24, v13
	v_add_f16_e32 v24, v7, v14
	v_add_f16_e32 v25, v14, v9
	;; [unrolled: 1-line block ×8, first 2 shown]
	v_sub_f16_e32 v19, v40, v42
	v_add_f16_e32 v38, v22, v16
	v_add_f16_e32 v39, v16, v11
	;; [unrolled: 1-line block ×5, first 2 shown]
	v_fmac_f16_e32 v4, -0.5, v18
	v_add_f16_e32 v13, v20, v42
	v_fmac_f16_e32 v27, -0.5, v21
	v_sub_f16_e32 v26, v44, v46
	v_sub_f16_e32 v14, v14, v9
	v_add_f16_e32 v9, v24, v9
	v_fmac_f16_e32 v7, -0.5, v25
	v_add_f16_e32 v18, v30, v46
	v_fmac_f16_e32 v28, -0.5, v32
	v_sub_f16_e32 v35, v48, v50
	v_sub_f16_e32 v10, v10, v15
	v_add_f16_e32 v15, v33, v15
	;; [unrolled: 6-line block ×3, first 2 shown]
	v_fmac_f16_e32 v22, -0.5, v39
	v_add_f16_e32 v21, v41, v54
	v_fmac_f16_e32 v31, -0.5, v43
	v_fmamk_f16 v24, v19, 0x3aee, v4
	v_fmac_f16_e32 v4, 0xbaee, v19
	v_fmamk_f16 v19, v23, 0xbaee, v27
	v_pack_b32_f16 v12, v12, v13
	v_fmac_f16_e32 v27, 0x3aee, v23
	v_fmamk_f16 v23, v26, 0x3aee, v7
	v_fmamk_f16 v25, v14, 0xbaee, v28
	v_pack_b32_f16 v9, v9, v18
	v_fmac_f16_e32 v7, 0xbaee, v26
	v_fmac_f16_e32 v28, 0x3aee, v14
	v_fmamk_f16 v14, v35, 0x3aee, v17
	v_fmamk_f16 v26, v10, 0xbaee, v29
	v_pack_b32_f16 v13, v15, v20
	v_fmac_f16_e32 v17, 0xbaee, v35
	v_fmac_f16_e32 v29, 0x3aee, v10
	v_fmamk_f16 v10, v40, 0x3aee, v22
	v_fmac_f16_e32 v22, 0xbaee, v40
	v_fmamk_f16 v30, v16, 0xbaee, v31
	v_fmac_f16_e32 v31, 0x3aee, v16
	v_pack_b32_f16 v11, v11, v21
	ds_write_b32 v0, v12
	v_pack_b32_f16 v12, v24, v19
	v_pack_b32_f16 v4, v4, v27
	ds_write_b32 v0, v9 offset:1296
	v_pack_b32_f16 v9, v23, v25
	v_pack_b32_f16 v7, v7, v28
	ds_write_b32 v0, v13 offset:2592
	;; [unrolled: 3-line block ×4, first 2 shown]
	ds_write_b32 v0, v4 offset:10368
	ds_write_b32 v0, v9 offset:6480
	;; [unrolled: 1-line block ×7, first 2 shown]
	s_waitcnt lgkmcnt(0)
	s_barrier
	buffer_gl0_inv
	s_and_saveexec_b32 s0, vcc_lo
	s_cbranch_execz .LBB0_23
; %bb.22:
	v_mul_lo_u32 v0, s3, v5
	v_mul_lo_u32 v4, s2, v6
	v_mad_u64_u32 v[5:6], null, s2, v5, 0
	v_lshl_add_u32 v15, v3, 2, 0
	v_add_nc_u32_e32 v7, 0x144, v3
	v_lshlrev_b64 v[11:12], 2, v[7:8]
	v_add3_u32 v6, v6, v4, v0
	v_mov_b32_e32 v4, v8
	v_lshlrev_b64 v[0:1], 2, v[1:2]
	v_add_nc_u32_e32 v7, 0x288, v3
	v_lshlrev_b64 v[5:6], 2, v[5:6]
	v_lshlrev_b64 v[9:10], 2, v[3:4]
	v_add_co_u32 v2, vcc_lo, s10, v5
	v_add_co_ci_u32_e32 v4, vcc_lo, s11, v6, vcc_lo
	ds_read_b32 v6, v15
	ds_read_b32 v13, v15 offset:1296
	ds_read_b32 v14, v15 offset:2592
	v_add_co_u32 v16, vcc_lo, v2, v0
	v_add_co_ci_u32_e32 v17, vcc_lo, v4, v1, vcc_lo
	v_lshlrev_b64 v[0:1], 2, v[7:8]
	v_add_co_u32 v4, vcc_lo, v16, v9
	v_add_nc_u32_e32 v7, 0x3cc, v3
	v_add_co_ci_u32_e32 v5, vcc_lo, v17, v10, vcc_lo
	v_add_co_u32 v9, vcc_lo, v16, v11
	v_add_co_ci_u32_e32 v10, vcc_lo, v17, v12, vcc_lo
	v_add_co_u32 v0, vcc_lo, v16, v0
	v_lshlrev_b64 v[11:12], 2, v[7:8]
	v_add_nc_u32_e32 v7, 0x510, v3
	v_add_co_ci_u32_e32 v1, vcc_lo, v17, v1, vcc_lo
	ds_read_b32 v2, v15 offset:3888
	ds_read_b32 v18, v15 offset:5184
	;; [unrolled: 1-line block ×5, first 2 shown]
	s_waitcnt lgkmcnt(7)
	global_store_dword v[4:5], v6, off
	s_waitcnt lgkmcnt(6)
	global_store_dword v[9:10], v13, off
	;; [unrolled: 2-line block ×3, first 2 shown]
	v_lshlrev_b64 v[0:1], 2, v[7:8]
	v_add_nc_u32_e32 v7, 0x654, v3
	v_add_co_u32 v4, vcc_lo, v16, v11
	v_add_co_ci_u32_e32 v5, vcc_lo, v17, v12, vcc_lo
	v_lshlrev_b64 v[9:10], 2, v[7:8]
	v_add_nc_u32_e32 v7, 0x798, v3
	v_add_co_u32 v0, vcc_lo, v16, v0
	v_add_co_ci_u32_e32 v1, vcc_lo, v17, v1, vcc_lo
	;; [unrolled: 4-line block ×4, first 2 shown]
	s_waitcnt lgkmcnt(4)
	global_store_dword v[4:5], v2, off
	s_waitcnt lgkmcnt(3)
	global_store_dword v[0:1], v18, off
	;; [unrolled: 2-line block ×4, first 2 shown]
	v_lshlrev_b64 v[0:1], 2, v[7:8]
	v_add_nc_u32_e32 v7, 0xb64, v3
	v_add_co_u32 v4, vcc_lo, v16, v13
	v_add_co_ci_u32_e32 v5, vcc_lo, v17, v14, vcc_lo
	ds_read_b32 v13, v15 offset:10368
	ds_read_b32 v14, v15 offset:11664
	;; [unrolled: 1-line block ×4, first 2 shown]
	v_lshlrev_b64 v[9:10], 2, v[7:8]
	v_add_nc_u32_e32 v7, 0xca8, v3
	v_add_co_u32 v0, vcc_lo, v16, v0
	v_add_co_ci_u32_e32 v1, vcc_lo, v17, v1, vcc_lo
	v_lshlrev_b64 v[11:12], 2, v[7:8]
	v_add_nc_u32_e32 v7, 0xdec, v3
	v_add_co_u32 v2, vcc_lo, v16, v9
	v_add_co_ci_u32_e32 v3, vcc_lo, v17, v10, vcc_lo
	v_lshlrev_b64 v[6:7], 2, v[7:8]
	v_add_co_u32 v8, vcc_lo, v16, v11
	v_add_co_ci_u32_e32 v9, vcc_lo, v17, v12, vcc_lo
	v_add_co_u32 v6, vcc_lo, v16, v6
	v_add_co_ci_u32_e32 v7, vcc_lo, v17, v7, vcc_lo
	s_waitcnt lgkmcnt(4)
	global_store_dword v[4:5], v21, off
	s_waitcnt lgkmcnt(3)
	global_store_dword v[0:1], v13, off
	;; [unrolled: 2-line block ×5, first 2 shown]
.LBB0_23:
	s_endpgm
	.section	.rodata,"a",@progbits
	.p2align	6, 0x0
	.amdhsa_kernel fft_rtc_fwd_len3888_factors_16_3_3_3_3_3_wgs_324_tpt_324_halfLds_half_op_CI_CI_unitstride_sbrr_C2R_dirReg
		.amdhsa_group_segment_fixed_size 0
		.amdhsa_private_segment_fixed_size 0
		.amdhsa_kernarg_size 104
		.amdhsa_user_sgpr_count 6
		.amdhsa_user_sgpr_private_segment_buffer 1
		.amdhsa_user_sgpr_dispatch_ptr 0
		.amdhsa_user_sgpr_queue_ptr 0
		.amdhsa_user_sgpr_kernarg_segment_ptr 1
		.amdhsa_user_sgpr_dispatch_id 0
		.amdhsa_user_sgpr_flat_scratch_init 0
		.amdhsa_user_sgpr_private_segment_size 0
		.amdhsa_wavefront_size32 1
		.amdhsa_uses_dynamic_stack 0
		.amdhsa_system_sgpr_private_segment_wavefront_offset 0
		.amdhsa_system_sgpr_workgroup_id_x 1
		.amdhsa_system_sgpr_workgroup_id_y 0
		.amdhsa_system_sgpr_workgroup_id_z 0
		.amdhsa_system_sgpr_workgroup_info 0
		.amdhsa_system_vgpr_workitem_id 0
		.amdhsa_next_free_vgpr 63
		.amdhsa_next_free_sgpr 27
		.amdhsa_reserve_vcc 1
		.amdhsa_reserve_flat_scratch 0
		.amdhsa_float_round_mode_32 0
		.amdhsa_float_round_mode_16_64 0
		.amdhsa_float_denorm_mode_32 3
		.amdhsa_float_denorm_mode_16_64 3
		.amdhsa_dx10_clamp 1
		.amdhsa_ieee_mode 1
		.amdhsa_fp16_overflow 0
		.amdhsa_workgroup_processor_mode 1
		.amdhsa_memory_ordered 1
		.amdhsa_forward_progress 0
		.amdhsa_shared_vgpr_count 0
		.amdhsa_exception_fp_ieee_invalid_op 0
		.amdhsa_exception_fp_denorm_src 0
		.amdhsa_exception_fp_ieee_div_zero 0
		.amdhsa_exception_fp_ieee_overflow 0
		.amdhsa_exception_fp_ieee_underflow 0
		.amdhsa_exception_fp_ieee_inexact 0
		.amdhsa_exception_int_div_zero 0
	.end_amdhsa_kernel
	.text
.Lfunc_end0:
	.size	fft_rtc_fwd_len3888_factors_16_3_3_3_3_3_wgs_324_tpt_324_halfLds_half_op_CI_CI_unitstride_sbrr_C2R_dirReg, .Lfunc_end0-fft_rtc_fwd_len3888_factors_16_3_3_3_3_3_wgs_324_tpt_324_halfLds_half_op_CI_CI_unitstride_sbrr_C2R_dirReg
                                        ; -- End function
	.section	.AMDGPU.csdata,"",@progbits
; Kernel info:
; codeLenInByte = 10624
; NumSgprs: 29
; NumVgprs: 63
; ScratchSize: 0
; MemoryBound: 0
; FloatMode: 240
; IeeeMode: 1
; LDSByteSize: 0 bytes/workgroup (compile time only)
; SGPRBlocks: 3
; VGPRBlocks: 7
; NumSGPRsForWavesPerEU: 29
; NumVGPRsForWavesPerEU: 63
; Occupancy: 14
; WaveLimiterHint : 1
; COMPUTE_PGM_RSRC2:SCRATCH_EN: 0
; COMPUTE_PGM_RSRC2:USER_SGPR: 6
; COMPUTE_PGM_RSRC2:TRAP_HANDLER: 0
; COMPUTE_PGM_RSRC2:TGID_X_EN: 1
; COMPUTE_PGM_RSRC2:TGID_Y_EN: 0
; COMPUTE_PGM_RSRC2:TGID_Z_EN: 0
; COMPUTE_PGM_RSRC2:TIDIG_COMP_CNT: 0
	.text
	.p2alignl 6, 3214868480
	.fill 48, 4, 3214868480
	.type	__hip_cuid_f04bb55173a681aa,@object ; @__hip_cuid_f04bb55173a681aa
	.section	.bss,"aw",@nobits
	.globl	__hip_cuid_f04bb55173a681aa
__hip_cuid_f04bb55173a681aa:
	.byte	0                               ; 0x0
	.size	__hip_cuid_f04bb55173a681aa, 1

	.ident	"AMD clang version 19.0.0git (https://github.com/RadeonOpenCompute/llvm-project roc-6.4.0 25133 c7fe45cf4b819c5991fe208aaa96edf142730f1d)"
	.section	".note.GNU-stack","",@progbits
	.addrsig
	.addrsig_sym __hip_cuid_f04bb55173a681aa
	.amdgpu_metadata
---
amdhsa.kernels:
  - .args:
      - .actual_access:  read_only
        .address_space:  global
        .offset:         0
        .size:           8
        .value_kind:     global_buffer
      - .offset:         8
        .size:           8
        .value_kind:     by_value
      - .actual_access:  read_only
        .address_space:  global
        .offset:         16
        .size:           8
        .value_kind:     global_buffer
      - .actual_access:  read_only
        .address_space:  global
        .offset:         24
        .size:           8
        .value_kind:     global_buffer
      - .actual_access:  read_only
        .address_space:  global
        .offset:         32
        .size:           8
        .value_kind:     global_buffer
      - .offset:         40
        .size:           8
        .value_kind:     by_value
      - .actual_access:  read_only
        .address_space:  global
        .offset:         48
        .size:           8
        .value_kind:     global_buffer
      - .actual_access:  read_only
        .address_space:  global
        .offset:         56
        .size:           8
        .value_kind:     global_buffer
      - .offset:         64
        .size:           4
        .value_kind:     by_value
      - .actual_access:  read_only
        .address_space:  global
        .offset:         72
        .size:           8
        .value_kind:     global_buffer
      - .actual_access:  read_only
        .address_space:  global
        .offset:         80
        .size:           8
        .value_kind:     global_buffer
      - .actual_access:  read_only
        .address_space:  global
        .offset:         88
        .size:           8
        .value_kind:     global_buffer
      - .actual_access:  write_only
        .address_space:  global
        .offset:         96
        .size:           8
        .value_kind:     global_buffer
    .group_segment_fixed_size: 0
    .kernarg_segment_align: 8
    .kernarg_segment_size: 104
    .language:       OpenCL C
    .language_version:
      - 2
      - 0
    .max_flat_workgroup_size: 324
    .name:           fft_rtc_fwd_len3888_factors_16_3_3_3_3_3_wgs_324_tpt_324_halfLds_half_op_CI_CI_unitstride_sbrr_C2R_dirReg
    .private_segment_fixed_size: 0
    .sgpr_count:     29
    .sgpr_spill_count: 0
    .symbol:         fft_rtc_fwd_len3888_factors_16_3_3_3_3_3_wgs_324_tpt_324_halfLds_half_op_CI_CI_unitstride_sbrr_C2R_dirReg.kd
    .uniform_work_group_size: 1
    .uses_dynamic_stack: false
    .vgpr_count:     63
    .vgpr_spill_count: 0
    .wavefront_size: 32
    .workgroup_processor_mode: 1
amdhsa.target:   amdgcn-amd-amdhsa--gfx1030
amdhsa.version:
  - 1
  - 2
...

	.end_amdgpu_metadata
